;; amdgpu-corpus repo=ROCm/rocFFT kind=compiled arch=gfx906 opt=O3
	.text
	.amdgcn_target "amdgcn-amd-amdhsa--gfx906"
	.amdhsa_code_object_version 6
	.protected	fft_rtc_fwd_len250_factors_10_5_5_wgs_125_tpt_25_halfLds_half_ip_CI_unitstride_sbrr_C2R_dirReg ; -- Begin function fft_rtc_fwd_len250_factors_10_5_5_wgs_125_tpt_25_halfLds_half_ip_CI_unitstride_sbrr_C2R_dirReg
	.globl	fft_rtc_fwd_len250_factors_10_5_5_wgs_125_tpt_25_halfLds_half_ip_CI_unitstride_sbrr_C2R_dirReg
	.p2align	8
	.type	fft_rtc_fwd_len250_factors_10_5_5_wgs_125_tpt_25_halfLds_half_ip_CI_unitstride_sbrr_C2R_dirReg,@function
fft_rtc_fwd_len250_factors_10_5_5_wgs_125_tpt_25_halfLds_half_ip_CI_unitstride_sbrr_C2R_dirReg: ; @fft_rtc_fwd_len250_factors_10_5_5_wgs_125_tpt_25_halfLds_half_ip_CI_unitstride_sbrr_C2R_dirReg
; %bb.0:
	s_load_dwordx2 s[2:3], s[4:5], 0x50
	s_load_dwordx4 s[8:11], s[4:5], 0x0
	s_load_dwordx2 s[12:13], s[4:5], 0x18
	v_mul_u32_u24_e32 v1, 0xa3e, v0
	v_lshrrev_b32_e32 v1, 16, v1
	v_mad_u64_u32 v[1:2], s[0:1], s6, 5, v[1:2]
	v_mov_b32_e32 v5, 0
	s_waitcnt lgkmcnt(0)
	v_cmp_lt_u64_e64 s[0:1], s[10:11], 2
	v_mov_b32_e32 v2, v5
	v_mov_b32_e32 v3, 0
	;; [unrolled: 1-line block ×3, first 2 shown]
	s_and_b64 vcc, exec, s[0:1]
	v_mov_b32_e32 v4, 0
	v_mov_b32_e32 v9, v1
	s_cbranch_vccnz .LBB0_8
; %bb.1:
	s_load_dwordx2 s[0:1], s[4:5], 0x10
	s_add_u32 s6, s12, 8
	s_addc_u32 s7, s13, 0
	v_mov_b32_e32 v3, 0
	v_mov_b32_e32 v8, v2
	s_waitcnt lgkmcnt(0)
	s_add_u32 s16, s0, 8
	s_mov_b64 s[14:15], 1
	v_mov_b32_e32 v4, 0
	s_addc_u32 s17, s1, 0
	v_mov_b32_e32 v7, v1
.LBB0_2:                                ; =>This Inner Loop Header: Depth=1
	s_load_dwordx2 s[18:19], s[16:17], 0x0
                                        ; implicit-def: $vgpr9_vgpr10
	s_waitcnt lgkmcnt(0)
	v_or_b32_e32 v6, s19, v8
	v_cmp_ne_u64_e32 vcc, 0, v[5:6]
	s_and_saveexec_b64 s[0:1], vcc
	s_xor_b64 s[20:21], exec, s[0:1]
	s_cbranch_execz .LBB0_4
; %bb.3:                                ;   in Loop: Header=BB0_2 Depth=1
	v_cvt_f32_u32_e32 v2, s18
	v_cvt_f32_u32_e32 v6, s19
	s_sub_u32 s0, 0, s18
	s_subb_u32 s1, 0, s19
	v_mac_f32_e32 v2, 0x4f800000, v6
	v_rcp_f32_e32 v2, v2
	v_mul_f32_e32 v2, 0x5f7ffffc, v2
	v_mul_f32_e32 v6, 0x2f800000, v2
	v_trunc_f32_e32 v6, v6
	v_mac_f32_e32 v2, 0xcf800000, v6
	v_cvt_u32_f32_e32 v6, v6
	v_cvt_u32_f32_e32 v2, v2
	v_mul_lo_u32 v9, s0, v6
	v_mul_hi_u32 v10, s0, v2
	v_mul_lo_u32 v12, s1, v2
	v_mul_lo_u32 v11, s0, v2
	v_add_u32_e32 v9, v10, v9
	v_add_u32_e32 v9, v9, v12
	v_mul_hi_u32 v10, v2, v11
	v_mul_lo_u32 v12, v2, v9
	v_mul_hi_u32 v14, v2, v9
	v_mul_hi_u32 v13, v6, v11
	v_mul_lo_u32 v11, v6, v11
	v_mul_hi_u32 v15, v6, v9
	v_add_co_u32_e32 v10, vcc, v10, v12
	v_addc_co_u32_e32 v12, vcc, 0, v14, vcc
	v_mul_lo_u32 v9, v6, v9
	v_add_co_u32_e32 v10, vcc, v10, v11
	v_addc_co_u32_e32 v10, vcc, v12, v13, vcc
	v_addc_co_u32_e32 v11, vcc, 0, v15, vcc
	v_add_co_u32_e32 v9, vcc, v10, v9
	v_addc_co_u32_e32 v10, vcc, 0, v11, vcc
	v_add_co_u32_e32 v2, vcc, v2, v9
	v_addc_co_u32_e32 v6, vcc, v6, v10, vcc
	v_mul_lo_u32 v9, s0, v6
	v_mul_hi_u32 v10, s0, v2
	v_mul_lo_u32 v11, s1, v2
	v_mul_lo_u32 v12, s0, v2
	v_add_u32_e32 v9, v10, v9
	v_add_u32_e32 v9, v9, v11
	v_mul_lo_u32 v13, v2, v9
	v_mul_hi_u32 v14, v2, v12
	v_mul_hi_u32 v15, v2, v9
	;; [unrolled: 1-line block ×3, first 2 shown]
	v_mul_lo_u32 v12, v6, v12
	v_mul_hi_u32 v10, v6, v9
	v_add_co_u32_e32 v13, vcc, v14, v13
	v_addc_co_u32_e32 v14, vcc, 0, v15, vcc
	v_mul_lo_u32 v9, v6, v9
	v_add_co_u32_e32 v12, vcc, v13, v12
	v_addc_co_u32_e32 v11, vcc, v14, v11, vcc
	v_addc_co_u32_e32 v10, vcc, 0, v10, vcc
	v_add_co_u32_e32 v9, vcc, v11, v9
	v_addc_co_u32_e32 v10, vcc, 0, v10, vcc
	v_add_co_u32_e32 v2, vcc, v2, v9
	v_addc_co_u32_e32 v6, vcc, v6, v10, vcc
	v_mad_u64_u32 v[9:10], s[0:1], v7, v6, 0
	v_mul_hi_u32 v11, v7, v2
	v_add_co_u32_e32 v13, vcc, v11, v9
	v_addc_co_u32_e32 v14, vcc, 0, v10, vcc
	v_mad_u64_u32 v[9:10], s[0:1], v8, v2, 0
	v_mad_u64_u32 v[11:12], s[0:1], v8, v6, 0
	v_add_co_u32_e32 v2, vcc, v13, v9
	v_addc_co_u32_e32 v2, vcc, v14, v10, vcc
	v_addc_co_u32_e32 v6, vcc, 0, v12, vcc
	v_add_co_u32_e32 v2, vcc, v2, v11
	v_addc_co_u32_e32 v6, vcc, 0, v6, vcc
	v_mul_lo_u32 v11, s19, v2
	v_mul_lo_u32 v12, s18, v6
	v_mad_u64_u32 v[9:10], s[0:1], s18, v2, 0
	v_add3_u32 v10, v10, v12, v11
	v_sub_u32_e32 v11, v8, v10
	v_mov_b32_e32 v12, s19
	v_sub_co_u32_e32 v9, vcc, v7, v9
	v_subb_co_u32_e64 v11, s[0:1], v11, v12, vcc
	v_subrev_co_u32_e64 v12, s[0:1], s18, v9
	v_subbrev_co_u32_e64 v11, s[0:1], 0, v11, s[0:1]
	v_cmp_le_u32_e64 s[0:1], s19, v11
	v_cndmask_b32_e64 v13, 0, -1, s[0:1]
	v_cmp_le_u32_e64 s[0:1], s18, v12
	v_cndmask_b32_e64 v12, 0, -1, s[0:1]
	v_cmp_eq_u32_e64 s[0:1], s19, v11
	v_cndmask_b32_e64 v11, v13, v12, s[0:1]
	v_add_co_u32_e64 v12, s[0:1], 2, v2
	v_addc_co_u32_e64 v13, s[0:1], 0, v6, s[0:1]
	v_add_co_u32_e64 v14, s[0:1], 1, v2
	v_addc_co_u32_e64 v15, s[0:1], 0, v6, s[0:1]
	v_subb_co_u32_e32 v10, vcc, v8, v10, vcc
	v_cmp_ne_u32_e64 s[0:1], 0, v11
	v_cmp_le_u32_e32 vcc, s19, v10
	v_cndmask_b32_e64 v11, v15, v13, s[0:1]
	v_cndmask_b32_e64 v13, 0, -1, vcc
	v_cmp_le_u32_e32 vcc, s18, v9
	v_cndmask_b32_e64 v9, 0, -1, vcc
	v_cmp_eq_u32_e32 vcc, s19, v10
	v_cndmask_b32_e32 v9, v13, v9, vcc
	v_cmp_ne_u32_e32 vcc, 0, v9
	v_cndmask_b32_e32 v10, v6, v11, vcc
	v_cndmask_b32_e64 v6, v14, v12, s[0:1]
	v_cndmask_b32_e32 v9, v2, v6, vcc
.LBB0_4:                                ;   in Loop: Header=BB0_2 Depth=1
	s_andn2_saveexec_b64 s[0:1], s[20:21]
	s_cbranch_execz .LBB0_6
; %bb.5:                                ;   in Loop: Header=BB0_2 Depth=1
	v_cvt_f32_u32_e32 v2, s18
	s_sub_i32 s20, 0, s18
	v_rcp_iflag_f32_e32 v2, v2
	v_mul_f32_e32 v2, 0x4f7ffffe, v2
	v_cvt_u32_f32_e32 v2, v2
	v_mul_lo_u32 v6, s20, v2
	v_mul_hi_u32 v6, v2, v6
	v_add_u32_e32 v2, v2, v6
	v_mul_hi_u32 v2, v7, v2
	v_mul_lo_u32 v6, v2, s18
	v_add_u32_e32 v9, 1, v2
	v_sub_u32_e32 v6, v7, v6
	v_subrev_u32_e32 v10, s18, v6
	v_cmp_le_u32_e32 vcc, s18, v6
	v_cndmask_b32_e32 v6, v6, v10, vcc
	v_cndmask_b32_e32 v2, v2, v9, vcc
	v_add_u32_e32 v9, 1, v2
	v_cmp_le_u32_e32 vcc, s18, v6
	v_cndmask_b32_e32 v9, v2, v9, vcc
	v_mov_b32_e32 v10, v5
.LBB0_6:                                ;   in Loop: Header=BB0_2 Depth=1
	s_or_b64 exec, exec, s[0:1]
	v_mul_lo_u32 v2, v10, s18
	v_mul_lo_u32 v6, v9, s19
	v_mad_u64_u32 v[11:12], s[0:1], v9, s18, 0
	s_load_dwordx2 s[0:1], s[6:7], 0x0
	s_add_u32 s14, s14, 1
	v_add3_u32 v2, v12, v6, v2
	v_sub_co_u32_e32 v6, vcc, v7, v11
	v_subb_co_u32_e32 v2, vcc, v8, v2, vcc
	s_waitcnt lgkmcnt(0)
	v_mul_lo_u32 v2, s0, v2
	v_mul_lo_u32 v7, s1, v6
	v_mad_u64_u32 v[3:4], s[0:1], s0, v6, v[3:4]
	s_addc_u32 s15, s15, 0
	s_add_u32 s6, s6, 8
	v_add3_u32 v4, v7, v4, v2
	v_mov_b32_e32 v6, s10
	v_mov_b32_e32 v7, s11
	s_addc_u32 s7, s7, 0
	v_cmp_ge_u64_e32 vcc, s[14:15], v[6:7]
	s_add_u32 s16, s16, 8
	s_addc_u32 s17, s17, 0
	s_cbranch_vccnz .LBB0_8
; %bb.7:                                ;   in Loop: Header=BB0_2 Depth=1
	v_mov_b32_e32 v7, v9
	v_mov_b32_e32 v8, v10
	s_branch .LBB0_2
.LBB0_8:
	s_lshl_b64 s[0:1], s[10:11], 3
	s_add_u32 s0, s12, s0
	s_addc_u32 s1, s13, s1
	s_load_dwordx2 s[0:1], s[0:1], 0x0
	s_mov_b32 s6, 0xcccccccd
	v_mul_hi_u32 v5, v1, s6
	s_waitcnt lgkmcnt(0)
	v_mul_lo_u32 v6, s0, v10
	v_mul_lo_u32 v7, s1, v9
	v_mad_u64_u32 v[2:3], s[0:1], s0, v9, v[3:4]
	s_load_dwordx2 s[0:1], s[4:5], 0x20
	s_mov_b32 s4, 0xa3d70a4
	v_lshrrev_b32_e32 v4, 2, v5
	v_mul_hi_u32 v5, v0, s4
	v_lshl_add_u32 v4, v4, 2, v4
	v_add3_u32 v3, v7, v3, v6
	v_sub_u32_e32 v1, v1, v4
	v_mul_u32_u24_e32 v6, 0xfb, v1
	s_waitcnt lgkmcnt(0)
	v_cmp_gt_u64_e32 vcc, s[0:1], v[9:10]
	v_mul_u32_u24_e32 v1, 25, v5
	v_lshlrev_b64 v[4:5], 2, v[2:3]
	v_sub_u32_e32 v0, v0, v1
	v_lshlrev_b32_e32 v10, 2, v6
	s_and_saveexec_b64 s[4:5], vcc
	s_cbranch_execz .LBB0_12
; %bb.9:
	v_mov_b32_e32 v1, 0
	v_mov_b32_e32 v3, s3
	v_add_co_u32_e64 v2, s[0:1], s2, v4
	v_lshlrev_b64 v[7:8], 2, v[0:1]
	v_addc_co_u32_e64 v3, s[0:1], v3, v5, s[0:1]
	v_add_co_u32_e64 v7, s[0:1], v2, v7
	v_addc_co_u32_e64 v8, s[0:1], v3, v8, s[0:1]
	global_load_dword v9, v[7:8], off
	global_load_dword v11, v[7:8], off offset:100
	global_load_dword v12, v[7:8], off offset:200
	;; [unrolled: 1-line block ×9, first 2 shown]
	v_lshlrev_b32_e32 v1, 2, v0
	v_add3_u32 v1, 0, v10, v1
	v_cmp_eq_u32_e64 s[0:1], 24, v0
	s_waitcnt vmcnt(8)
	ds_write2_b32 v1, v9, v11 offset1:25
	s_waitcnt vmcnt(6)
	ds_write2_b32 v1, v12, v13 offset0:50 offset1:75
	s_waitcnt vmcnt(4)
	ds_write2_b32 v1, v14, v15 offset0:100 offset1:125
	;; [unrolled: 2-line block ×4, first 2 shown]
	s_and_saveexec_b64 s[6:7], s[0:1]
	s_cbranch_execz .LBB0_11
; %bb.10:
	global_load_dword v0, v[2:3], off offset:1000
	s_waitcnt vmcnt(0)
	ds_write_b32 v1, v0 offset:904
	v_mov_b32_e32 v0, 24
.LBB0_11:
	s_or_b64 exec, exec, s[6:7]
.LBB0_12:
	s_or_b64 exec, exec, s[4:5]
	v_lshl_add_u32 v8, v6, 2, 0
	v_lshlrev_b32_e32 v2, 2, v0
	v_add_u32_e32 v9, v8, v2
	s_waitcnt lgkmcnt(0)
	s_barrier
	v_sub_u32_e32 v3, v8, v2
	ds_read_u16 v13, v9
	ds_read_u16 v14, v3 offset:1000
	v_cmp_ne_u32_e64 s[0:1], 0, v0
                                        ; implicit-def: $vgpr6_vgpr7
	s_waitcnt lgkmcnt(0)
	v_add_f16_e32 v11, v14, v13
	v_sub_f16_e32 v12, v13, v14
	s_and_saveexec_b64 s[4:5], s[0:1]
	s_xor_b64 s[4:5], exec, s[4:5]
	s_cbranch_execz .LBB0_14
; %bb.13:
	v_mov_b32_e32 v1, 0
	v_lshlrev_b64 v[6:7], 2, v[0:1]
	v_mov_b32_e32 v11, s9
	v_add_co_u32_e64 v6, s[0:1], s8, v6
	v_addc_co_u32_e64 v7, s[0:1], v11, v7, s[0:1]
	global_load_dword v6, v[6:7], off offset:960
	ds_read_u16 v7, v3 offset:1002
	ds_read_u16 v11, v9 offset:2
	v_add_f16_e32 v12, v14, v13
	v_sub_f16_e32 v13, v13, v14
	s_waitcnt lgkmcnt(0)
	v_add_f16_e32 v14, v7, v11
	v_sub_f16_e32 v7, v11, v7
	s_waitcnt vmcnt(0)
	v_lshrrev_b32_e32 v11, 16, v6
	v_fma_f16 v15, v13, v11, v12
	v_fma_f16 v16, v14, v11, v7
	v_fma_f16 v17, -v13, v11, v12
	v_fma_f16 v7, v14, v11, -v7
	v_fma_f16 v11, -v6, v14, v15
	v_fma_f16 v12, v13, v6, v16
	v_fma_f16 v14, v6, v14, v17
	;; [unrolled: 1-line block ×3, first 2 shown]
	v_pack_b32_f16 v6, v14, v6
	ds_write_b32 v3, v6 offset:1000
	v_mov_b32_e32 v7, v1
	v_mov_b32_e32 v6, v0
.LBB0_14:
	s_andn2_saveexec_b64 s[0:1], s[4:5]
	s_cbranch_execz .LBB0_16
; %bb.15:
	ds_read_b32 v1, v8 offset:500
	s_mov_b32 s4, 0xc0004000
	v_mov_b32_e32 v6, 0
	v_mov_b32_e32 v7, 0
	s_waitcnt lgkmcnt(0)
	v_pk_mul_f16 v1, v1, s4
	ds_write_b32 v8, v1 offset:500
.LBB0_16:
	s_or_b64 exec, exec, s[0:1]
	s_add_u32 s0, s8, 0x3c0
	v_lshlrev_b64 v[6:7], 2, v[6:7]
	s_addc_u32 s1, s9, 0
	v_mov_b32_e32 v1, s1
	v_add_co_u32_e64 v6, s[0:1], s0, v6
	v_addc_co_u32_e64 v7, s[0:1], v1, v7, s[0:1]
	global_load_dword v1, v[6:7], off offset:100
	global_load_dword v13, v[6:7], off offset:200
	;; [unrolled: 1-line block ×4, first 2 shown]
	s_mov_b32 s0, 0x5040100
	v_perm_b32 v6, v12, v11, s0
	ds_write_b32 v9, v6
	ds_read_b32 v6, v9 offset:100
	ds_read_b32 v7, v3 offset:900
	s_movk_i32 s4, 0x3b9c
	s_mov_b32 s7, 0xbb9c
	s_movk_i32 s5, 0x38b4
	s_mov_b32 s10, 0xb8b4
	s_waitcnt lgkmcnt(0)
	v_add_f16_e32 v11, v6, v7
	v_add_f16_sdwa v12, v7, v6 dst_sel:DWORD dst_unused:UNUSED_PAD src0_sel:WORD_1 src1_sel:WORD_1
	v_sub_f16_e32 v16, v6, v7
	v_sub_f16_sdwa v6, v6, v7 dst_sel:DWORD dst_unused:UNUSED_PAD src0_sel:WORD_1 src1_sel:WORD_1
	s_movk_i32 s6, 0x34f2
	s_movk_i32 s0, 0x3a79
	s_waitcnt vmcnt(3)
	v_lshrrev_b32_e32 v7, 16, v1
	v_fma_f16 v17, v16, v7, v11
	v_fma_f16 v18, v12, v7, v6
	v_fma_f16 v11, -v16, v7, v11
	v_fma_f16 v6, v12, v7, -v6
	v_fma_f16 v7, -v1, v12, v17
	v_fma_f16 v17, v16, v1, v18
	v_fma_f16 v11, v1, v12, v11
	;; [unrolled: 1-line block ×3, first 2 shown]
	v_pack_b32_f16 v6, v7, v17
	v_pack_b32_f16 v1, v11, v1
	ds_write_b32 v9, v6 offset:100
	ds_write_b32 v3, v1 offset:900
	ds_read_b32 v1, v9 offset:200
	ds_read_b32 v6, v3 offset:800
	s_waitcnt vmcnt(2)
	v_lshrrev_b32_e32 v7, 16, v13
	s_waitcnt lgkmcnt(0)
	v_add_f16_e32 v11, v1, v6
	v_add_f16_sdwa v12, v6, v1 dst_sel:DWORD dst_unused:UNUSED_PAD src0_sel:WORD_1 src1_sel:WORD_1
	v_sub_f16_e32 v16, v1, v6
	v_sub_f16_sdwa v1, v1, v6 dst_sel:DWORD dst_unused:UNUSED_PAD src0_sel:WORD_1 src1_sel:WORD_1
	v_fma_f16 v6, v16, v7, v11
	v_fma_f16 v17, v12, v7, v1
	v_fma_f16 v11, -v16, v7, v11
	v_fma_f16 v1, v12, v7, -v1
	v_fma_f16 v6, -v13, v12, v6
	v_fma_f16 v7, v16, v13, v17
	v_fma_f16 v11, v13, v12, v11
	;; [unrolled: 1-line block ×3, first 2 shown]
	v_pack_b32_f16 v6, v6, v7
	v_pack_b32_f16 v1, v11, v1
	ds_write_b32 v9, v6 offset:200
	ds_write_b32 v3, v1 offset:800
	ds_read_b32 v6, v9 offset:300
	ds_read_b32 v7, v3 offset:700
	s_waitcnt vmcnt(1)
	v_lshrrev_b32_e32 v11, 16, v14
	v_add3_u32 v1, 0, v2, v10
	s_waitcnt lgkmcnt(0)
	v_add_f16_e32 v12, v6, v7
	v_add_f16_sdwa v13, v7, v6 dst_sel:DWORD dst_unused:UNUSED_PAD src0_sel:WORD_1 src1_sel:WORD_1
	v_sub_f16_e32 v16, v6, v7
	v_sub_f16_sdwa v6, v6, v7 dst_sel:DWORD dst_unused:UNUSED_PAD src0_sel:WORD_1 src1_sel:WORD_1
	v_fma_f16 v7, v16, v11, v12
	v_fma_f16 v17, v13, v11, v6
	v_fma_f16 v12, -v16, v11, v12
	v_fma_f16 v6, v13, v11, -v6
	v_fma_f16 v7, -v14, v13, v7
	v_fma_f16 v11, v16, v14, v17
	v_fma_f16 v12, v14, v13, v12
	;; [unrolled: 1-line block ×3, first 2 shown]
	v_pack_b32_f16 v7, v7, v11
	v_pack_b32_f16 v6, v12, v6
	ds_write_b32 v9, v7 offset:300
	ds_write_b32 v3, v6 offset:700
	ds_read_b32 v6, v9 offset:400
	ds_read_b32 v7, v3 offset:600
	s_waitcnt vmcnt(0)
	v_lshrrev_b32_e32 v11, 16, v15
	s_waitcnt lgkmcnt(0)
	v_add_f16_e32 v12, v6, v7
	v_add_f16_sdwa v13, v7, v6 dst_sel:DWORD dst_unused:UNUSED_PAD src0_sel:WORD_1 src1_sel:WORD_1
	v_sub_f16_e32 v14, v6, v7
	v_sub_f16_sdwa v6, v6, v7 dst_sel:DWORD dst_unused:UNUSED_PAD src0_sel:WORD_1 src1_sel:WORD_1
	v_fma_f16 v7, v14, v11, v12
	v_fma_f16 v16, v13, v11, v6
	v_fma_f16 v12, -v14, v11, v12
	v_fma_f16 v6, v13, v11, -v6
	v_fma_f16 v7, -v15, v13, v7
	v_fma_f16 v11, v14, v15, v16
	v_fma_f16 v12, v15, v13, v12
	v_fma_f16 v6, v14, v15, v6
	v_pack_b32_f16 v7, v7, v11
	v_pack_b32_f16 v6, v12, v6
	ds_write_b32 v9, v7 offset:400
	ds_write_b32 v3, v6 offset:600
	s_waitcnt lgkmcnt(0)
	s_barrier
	s_barrier
	ds_read2_b32 v[6:7], v1 offset0:25 offset1:50
	ds_read2_b32 v[11:12], v1 offset0:75 offset1:100
	;; [unrolled: 1-line block ×4, first 2 shown]
	ds_read_b32 v3, v9
	ds_read_b32 v17, v1 offset:900
	s_waitcnt lgkmcnt(0)
	v_sub_f16_e32 v22, v7, v12
	v_add_f16_e32 v18, v12, v14
	v_sub_f16_sdwa v19, v7, v16 dst_sel:DWORD dst_unused:UNUSED_PAD src0_sel:WORD_1 src1_sel:WORD_1
	v_sub_f16_e32 v21, v16, v14
	v_add_f16_e32 v23, v7, v16
	v_fma_f16 v18, v18, -0.5, v3
	v_sub_f16_sdwa v20, v12, v14 dst_sel:DWORD dst_unused:UNUSED_PAD src0_sel:WORD_1 src1_sel:WORD_1
	v_add_f16_e32 v21, v22, v21
	v_fma_f16 v22, v23, -0.5, v3
	v_fma_f16 v23, v19, s4, v18
	v_fma_f16 v18, v19, s7, v18
	v_sub_f16_e32 v24, v14, v16
	v_sub_f16_e32 v25, v12, v7
	v_fma_f16 v26, v20, s7, v22
	v_fma_f16 v23, v20, s5, v23
	;; [unrolled: 1-line block ×7, first 2 shown]
	v_add_f16_e32 v21, v25, v24
	v_fma_f16 v19, v19, s10, v20
	v_fma_f16 v24, v21, s6, v26
	;; [unrolled: 1-line block ×3, first 2 shown]
	v_add_f16_sdwa v20, v12, v14 dst_sel:DWORD dst_unused:UNUSED_PAD src0_sel:WORD_1 src1_sel:WORD_1
	v_lshrrev_b32_e32 v21, 16, v3
	v_fma_f16 v20, v20, -0.5, v21
	v_sub_f16_e32 v22, v7, v16
	v_fma_f16 v25, v22, s7, v20
	v_sub_f16_e32 v26, v12, v14
	v_sub_f16_sdwa v27, v7, v12 dst_sel:DWORD dst_unused:UNUSED_PAD src0_sel:WORD_1 src1_sel:WORD_1
	v_sub_f16_sdwa v28, v16, v14 dst_sel:DWORD dst_unused:UNUSED_PAD src0_sel:WORD_1 src1_sel:WORD_1
	v_fma_f16 v20, v22, s4, v20
	v_fma_f16 v25, v26, s10, v25
	v_add_f16_e32 v27, v27, v28
	v_fma_f16 v20, v26, s5, v20
	v_fma_f16 v25, v27, s6, v25
	;; [unrolled: 1-line block ×3, first 2 shown]
	v_add_f16_sdwa v27, v7, v16 dst_sel:DWORD dst_unused:UNUSED_PAD src0_sel:WORD_1 src1_sel:WORD_1
	v_fma_f16 v21, v27, -0.5, v21
	v_sub_f16_sdwa v27, v12, v7 dst_sel:DWORD dst_unused:UNUSED_PAD src0_sel:WORD_1 src1_sel:WORD_1
	v_sub_f16_sdwa v28, v14, v16 dst_sel:DWORD dst_unused:UNUSED_PAD src0_sel:WORD_1 src1_sel:WORD_1
	v_add_f16_e32 v27, v27, v28
	v_fma_f16 v28, v26, s4, v21
	v_fma_f16 v21, v26, s7, v21
	;; [unrolled: 1-line block ×6, first 2 shown]
	v_add_f16_e32 v22, v13, v15
	v_sub_f16_e32 v26, v17, v15
	v_sub_f16_e32 v27, v11, v13
	v_fma_f16 v22, v22, -0.5, v6
	v_add_f16_e32 v26, v27, v26
	v_sub_f16_sdwa v27, v11, v17 dst_sel:DWORD dst_unused:UNUSED_PAD src0_sel:WORD_1 src1_sel:WORD_1
	v_fma_f16 v29, v27, s4, v22
	v_sub_f16_sdwa v30, v13, v15 dst_sel:DWORD dst_unused:UNUSED_PAD src0_sel:WORD_1 src1_sel:WORD_1
	v_fma_f16 v22, v27, s7, v22
	v_fma_f16 v29, v30, s5, v29
	;; [unrolled: 1-line block ×5, first 2 shown]
	v_sub_f16_e32 v26, v15, v17
	v_sub_f16_e32 v31, v13, v11
	v_add_f16_e32 v26, v31, v26
	v_add_f16_e32 v31, v11, v17
	v_fma_f16 v31, v31, -0.5, v6
	v_fma_f16 v32, v30, s7, v31
	v_fma_f16 v30, v30, s4, v31
	v_pk_add_f16 v3, v3, v7
	v_fma_f16 v31, v27, s5, v32
	v_fma_f16 v27, v27, s10, v30
	v_pk_add_f16 v3, v3, v12
	v_pk_add_f16 v7, v6, v11
	v_fma_f16 v30, v26, s6, v31
	v_fma_f16 v26, v26, s6, v27
	v_pk_add_f16 v3, v3, v14
	v_pk_add_f16 v7, v7, v13
	v_add_f16_sdwa v12, v13, v15 dst_sel:DWORD dst_unused:UNUSED_PAD src0_sel:WORD_1 src1_sel:WORD_1
	v_sub_f16_e32 v14, v13, v15
	v_sub_f16_sdwa v27, v11, v13 dst_sel:DWORD dst_unused:UNUSED_PAD src0_sel:WORD_1 src1_sel:WORD_1
	v_sub_f16_sdwa v13, v13, v11 dst_sel:DWORD dst_unused:UNUSED_PAD src0_sel:WORD_1 src1_sel:WORD_1
	v_sub_f16_e32 v31, v11, v17
	v_add_f16_sdwa v11, v11, v17 dst_sel:DWORD dst_unused:UNUSED_PAD src0_sel:WORD_1 src1_sel:WORD_1
	v_lshrrev_b32_e32 v6, 16, v6
	v_pk_add_f16 v3, v3, v16
	v_pk_add_f16 v7, v7, v15
	v_sub_f16_sdwa v16, v17, v15 dst_sel:DWORD dst_unused:UNUSED_PAD src0_sel:WORD_1 src1_sel:WORD_1
	v_sub_f16_sdwa v15, v15, v17 dst_sel:DWORD dst_unused:UNUSED_PAD src0_sel:WORD_1 src1_sel:WORD_1
	v_fma_f16 v12, v12, -0.5, v6
	v_fma_f16 v6, v11, -0.5, v6
	v_pk_add_f16 v17, v7, v17
	v_add_f16_e32 v7, v27, v16
	v_fma_f16 v16, v31, s7, v12
	v_fma_f16 v12, v31, s4, v12
	v_add_f16_e32 v11, v13, v15
	v_fma_f16 v13, v14, s4, v6
	v_fma_f16 v6, v14, s7, v6
	v_fma_f16 v16, v14, s10, v16
	v_fma_f16 v12, v14, s5, v12
	v_fma_f16 v13, v31, s10, v13
	v_fma_f16 v14, v31, s5, v6
	v_fma_f16 v16, v7, s6, v16
	v_fma_f16 v13, v11, s6, v13
	v_fma_f16 v11, v11, s6, v14
	v_mul_f16_e32 v14, 0x3a79, v29
	v_mul_f16_e32 v15, 0xb8b4, v29
	;; [unrolled: 1-line block ×3, first 2 shown]
	v_fma_f16 v14, v16, s5, v14
	v_fma_f16 v15, v16, s0, v15
	v_mul_f16_e32 v16, 0x3b9c, v13
	v_fma_f16 v13, v13, s6, v27
	v_mul_f16_e32 v27, 0x34f2, v26
	v_fma_f16 v27, v11, s4, -v27
	v_mul_f16_e32 v11, 0x34f2, v11
	v_fma_f16 v12, v7, s6, v12
	v_fma_f16 v11, v26, s7, -v11
	v_mul_f16_e32 v26, 0x3a79, v22
	v_fma_f16 v26, v12, s5, -v26
	v_mul_f16_e32 v12, 0x3a79, v12
	v_fma_f16 v16, v30, s6, v16
	v_fma_f16 v12, v22, s10, -v12
	v_add_f16_e32 v22, v23, v14
	v_sub_f16_e32 v14, v23, v14
	v_add_f16_e32 v23, v24, v16
	v_sub_f16_e32 v16, v24, v16
	;; [unrolled: 2-line block ×7, first 2 shown]
	v_add_f16_e32 v21, v20, v12
	v_mad_u32_u24 v6, v0, 36, v1
	v_sub_f16_e32 v12, v20, v12
	v_pk_add_f16 v20, v3, v17
	v_pk_add_f16 v3, v3, v17 neg_lo:[0,1] neg_hi:[0,1]
	v_pack_b32_f16 v17, v27, v21
	s_barrier
	ds_write2_b32 v6, v17, v3 offset0:4 offset1:5
	v_pack_b32_f16 v3, v14, v15
	v_pack_b32_f16 v13, v16, v13
	v_add_u32_e32 v7, 25, v0
	ds_write2_b32 v6, v3, v13 offset0:6 offset1:7
	v_pack_b32_f16 v3, v18, v12
	v_pack_b32_f16 v11, v19, v11
	s_movk_i32 s0, 0xcd
	v_pack_b32_f16 v22, v22, v26
	ds_write2_b32 v6, v11, v3 offset0:8 offset1:9
	v_mul_lo_u16_sdwa v11, v7, s0 dst_sel:DWORD dst_unused:UNUSED_PAD src0_sel:BYTE_0 src1_sel:DWORD
	ds_write2_b32 v6, v20, v22 offset1:1
	v_pack_b32_f16 v22, v23, v25
	v_lshrrev_b16_e32 v25, 11, v11
	v_mul_lo_u16_e32 v11, 10, v25
	v_mov_b32_e32 v3, 4
	v_sub_u16_e32 v26, v7, v11
	v_pack_b32_f16 v20, v24, v28
	v_lshlrev_b32_sdwa v11, v3, v26 dst_sel:DWORD dst_unused:UNUSED_PAD src0_sel:DWORD src1_sel:BYTE_0
	ds_write2_b32 v6, v22, v20 offset0:2 offset1:3
	s_waitcnt lgkmcnt(0)
	s_barrier
	global_load_dwordx4 v[11:14], v11, s[8:9]
	v_mul_lo_u16_sdwa v15, v0, s0 dst_sel:DWORD dst_unused:UNUSED_PAD src0_sel:BYTE_0 src1_sel:DWORD
	v_lshrrev_b16_e32 v27, 11, v15
	v_mul_lo_u16_e32 v15, 10, v27
	v_sub_u16_e32 v28, v0, v15
	v_lshlrev_b32_sdwa v3, v3, v28 dst_sel:DWORD dst_unused:UNUSED_PAD src0_sel:DWORD src1_sel:BYTE_0
	global_load_dwordx4 v[15:18], v3, s[8:9]
	ds_read2_b32 v[19:20], v1 offset0:125 offset1:150
	ds_read_b32 v3, v1 offset:900
	ds_read2_b32 v[21:22], v1 offset0:75 offset1:100
	ds_read_u16 v29, v1 offset:302
	ds_read2_b32 v[23:24], v1 offset0:175 offset1:200
	s_waitcnt lgkmcnt(4)
	v_lshrrev_b32_e32 v30, 16, v19
	s_waitcnt lgkmcnt(3)
	v_lshrrev_b32_e32 v31, 16, v3
	ds_read_b32 v32, v9
	s_movk_i32 s0, 0xc8
	v_mad_u32_u24 v27, v27, s0, 0
	s_waitcnt lgkmcnt(0)
	v_lshrrev_b32_e32 v35, 16, v32
	s_waitcnt vmcnt(1)
	v_mul_f16_sdwa v33, v29, v11 dst_sel:DWORD dst_unused:UNUSED_PAD src0_sel:DWORD src1_sel:WORD_1
	v_fma_f16 v33, v11, v21, -v33
	v_mul_f16_sdwa v21, v11, v21 dst_sel:DWORD dst_unused:UNUSED_PAD src0_sel:WORD_1 src1_sel:DWORD
	v_fma_f16 v21, v29, v11, v21
	v_mul_f16_sdwa v11, v31, v14 dst_sel:DWORD dst_unused:UNUSED_PAD src0_sel:DWORD src1_sel:WORD_1
	v_fma_f16 v29, v3, v14, -v11
	v_mul_f16_sdwa v3, v3, v14 dst_sel:DWORD dst_unused:UNUSED_PAD src0_sel:DWORD src1_sel:WORD_1
	v_mul_f16_sdwa v11, v19, v12 dst_sel:DWORD dst_unused:UNUSED_PAD src0_sel:DWORD src1_sel:WORD_1
	v_fma_f16 v3, v31, v14, v3
	v_fma_f16 v14, v30, v12, v11
	v_mul_f16_sdwa v11, v30, v12 dst_sel:DWORD dst_unused:UNUSED_PAD src0_sel:DWORD src1_sel:WORD_1
	v_fma_f16 v19, v19, v12, -v11
	v_lshrrev_b32_e32 v11, 16, v23
	v_mul_f16_sdwa v12, v23, v13 dst_sel:DWORD dst_unused:UNUSED_PAD src0_sel:DWORD src1_sel:WORD_1
	v_fma_f16 v30, v11, v13, v12
	v_mul_f16_sdwa v11, v11, v13 dst_sel:DWORD dst_unused:UNUSED_PAD src0_sel:DWORD src1_sel:WORD_1
	v_fma_f16 v13, v23, v13, -v11
	v_lshrrev_b32_e32 v11, 16, v22
	s_waitcnt vmcnt(0)
	v_mul_f16_sdwa v12, v16, v11 dst_sel:DWORD dst_unused:UNUSED_PAD src0_sel:WORD_1 src1_sel:DWORD
	v_fma_f16 v23, v16, v22, -v12
	v_mul_f16_sdwa v12, v16, v22 dst_sel:DWORD dst_unused:UNUSED_PAD src0_sel:WORD_1 src1_sel:DWORD
	v_fma_f16 v16, v16, v11, v12
	v_lshrrev_b32_e32 v11, 16, v20
	v_mul_f16_sdwa v12, v17, v11 dst_sel:DWORD dst_unused:UNUSED_PAD src0_sel:WORD_1 src1_sel:DWORD
	v_fma_f16 v22, v17, v20, -v12
	v_mul_f16_sdwa v12, v17, v20 dst_sel:DWORD dst_unused:UNUSED_PAD src0_sel:WORD_1 src1_sel:DWORD
	v_fma_f16 v17, v17, v11, v12
	ds_read2_b32 v[11:12], v1 offset0:25 offset1:50
	v_lshrrev_b32_e32 v20, 16, v24
	v_mul_f16_sdwa v31, v18, v20 dst_sel:DWORD dst_unused:UNUSED_PAD src0_sel:WORD_1 src1_sel:DWORD
	v_fma_f16 v31, v18, v24, -v31
	v_mul_f16_sdwa v24, v18, v24 dst_sel:DWORD dst_unused:UNUSED_PAD src0_sel:WORD_1 src1_sel:DWORD
	v_fma_f16 v18, v18, v20, v24
	s_waitcnt lgkmcnt(0)
	v_lshrrev_b32_e32 v20, 16, v12
	v_mul_f16_sdwa v24, v15, v12 dst_sel:DWORD dst_unused:UNUSED_PAD src0_sel:WORD_1 src1_sel:DWORD
	v_fma_f16 v24, v15, v20, v24
	v_mul_f16_sdwa v20, v15, v20 dst_sel:DWORD dst_unused:UNUSED_PAD src0_sel:WORD_1 src1_sel:DWORD
	v_fma_f16 v12, v15, v12, -v20
	v_sub_f16_e32 v15, v12, v23
	v_sub_f16_e32 v20, v31, v22
	v_add_f16_e32 v15, v15, v20
	v_sub_f16_e32 v20, v24, v16
	v_sub_f16_e32 v34, v18, v17
	v_add_f16_e32 v20, v20, v34
	v_mov_b32_e32 v34, 2
	v_lshlrev_b32_sdwa v28, v34, v28 dst_sel:DWORD dst_unused:UNUSED_PAD src0_sel:DWORD src1_sel:BYTE_0
	v_add3_u32 v27, v27, v28, v10
	v_add_f16_e32 v28, v32, v12
	v_add_f16_e32 v36, v35, v24
	;; [unrolled: 1-line block ×8, first 2 shown]
	v_pack_b32_f16 v28, v28, v36
	v_add_f16_e32 v36, v23, v22
	v_add_f16_e32 v40, v16, v17
	v_fma_f16 v36, v36, -0.5, v32
	v_sub_f16_e32 v37, v24, v18
	v_fma_f16 v40, v40, -0.5, v35
	v_sub_f16_e32 v41, v12, v31
	v_fma_f16 v38, v37, s4, v36
	v_sub_f16_e32 v39, v16, v17
	v_fma_f16 v42, v41, s7, v40
	;; [unrolled: 2-line block ×3, first 2 shown]
	v_fma_f16 v42, v43, s10, v42
	v_fma_f16 v38, v15, s6, v38
	;; [unrolled: 1-line block ×3, first 2 shown]
	v_pack_b32_f16 v38, v38, v42
	s_barrier
	ds_write2_b32 v27, v28, v38 offset1:10
	v_fma_f16 v28, v37, s7, v36
	v_fma_f16 v28, v39, s10, v28
	;; [unrolled: 1-line block ×3, first 2 shown]
	v_add_f16_e32 v28, v12, v31
	v_fma_f16 v28, v28, -0.5, v32
	v_sub_f16_e32 v12, v23, v12
	v_sub_f16_e32 v22, v22, v31
	v_add_f16_e32 v12, v12, v22
	v_fma_f16 v22, v39, s7, v28
	v_fma_f16 v23, v39, s4, v28
	;; [unrolled: 1-line block ×9, first 2 shown]
	v_add_f16_e32 v23, v24, v18
	v_fma_f16 v23, v23, -0.5, v35
	v_sub_f16_e32 v16, v16, v24
	v_sub_f16_e32 v17, v17, v18
	v_add_f16_e32 v16, v16, v17
	v_fma_f16 v17, v43, s4, v23
	v_fma_f16 v18, v43, s7, v23
	v_fma_f16 v17, v41, s10, v17
	v_fma_f16 v18, v41, s5, v18
	v_fma_f16 v17, v16, s6, v17
	v_fma_f16 v16, v16, s6, v18
	v_add_f16_e32 v18, v19, v13
	v_sub_f16_e32 v28, v33, v19
	v_sub_f16_e32 v31, v29, v13
	v_fma_f16 v18, v18, -0.5, v11
	v_add_f16_e32 v28, v28, v31
	v_sub_f16_e32 v31, v21, v3
	v_lshlrev_b32_sdwa v26, v34, v26 dst_sel:DWORD dst_unused:UNUSED_PAD src0_sel:DWORD src1_sel:BYTE_0
	v_fma_f16 v32, v31, s4, v18
	v_sub_f16_e32 v34, v14, v30
	v_fma_f16 v18, v31, s7, v18
	v_add_f16_e32 v23, v33, v29
	v_fma_f16 v32, v34, s5, v32
	v_fma_f16 v18, v34, s10, v18
	v_fma_f16 v23, v23, -0.5, v11
	v_lshrrev_b32_e32 v24, 16, v11
	v_add_f16_e32 v11, v11, v33
	v_fma_f16 v32, v28, s6, v32
	v_fma_f16 v18, v28, s6, v18
	v_sub_f16_e32 v28, v19, v33
	v_sub_f16_e32 v35, v13, v29
	v_add_f16_e32 v28, v28, v35
	v_fma_f16 v35, v34, s7, v23
	v_fma_f16 v23, v34, s4, v23
	v_add_f16_e32 v11, v11, v19
	v_fma_f16 v34, v31, s5, v35
	v_fma_f16 v23, v31, s10, v23
	;; [unrolled: 3-line block ×3, first 2 shown]
	v_add_f16_e32 v11, v11, v29
	v_sub_f16_e32 v28, v33, v29
	v_sub_f16_e32 v13, v19, v13
	;; [unrolled: 1-line block ×4, first 2 shown]
	v_add_f16_e32 v19, v19, v29
	v_add_f16_e32 v29, v14, v30
	v_fma_f16 v29, v29, -0.5, v24
	v_fma_f16 v33, v28, s7, v29
	v_fma_f16 v29, v28, s4, v29
	;; [unrolled: 1-line block ×6, first 2 shown]
	v_add_f16_e32 v29, v21, v3
	v_fma_f16 v29, v29, -0.5, v24
	v_add_f16_e32 v24, v24, v21
	v_add_f16_e32 v24, v24, v14
	v_sub_f16_e32 v14, v14, v21
	v_add_f16_e32 v21, v24, v30
	v_add_f16_e32 v21, v21, v3
	v_sub_f16_e32 v3, v30, v3
	v_add_f16_e32 v3, v14, v3
	v_fma_f16 v14, v13, s4, v29
	v_fma_f16 v13, v13, s7, v29
	;; [unrolled: 1-line block ×6, first 2 shown]
	v_pack_b32_f16 v13, v22, v17
	v_pack_b32_f16 v12, v12, v16
	ds_write2_b32 v27, v13, v12 offset0:20 offset1:30
	v_pack_b32_f16 v12, v15, v20
	ds_write_b32 v27, v12 offset:160
	v_mad_u32_u24 v12, v25, s0, 0
	v_add3_u32 v10, v12, v26, v10
	v_pack_b32_f16 v11, v11, v21
	v_pack_b32_f16 v12, v32, v33
	ds_write2_b32 v10, v11, v12 offset1:10
	v_pack_b32_f16 v11, v31, v14
	v_pack_b32_f16 v3, v23, v3
	ds_write2_b32 v10, v11, v3 offset0:20 offset1:30
	v_pack_b32_f16 v3, v18, v19
	ds_write_b32 v10, v3 offset:160
	v_mov_b32_e32 v3, 0
	v_lshlrev_b64 v[14:15], 2, v[2:3]
	v_lshlrev_b32_e32 v2, 2, v7
	v_lshlrev_b64 v[10:11], 2, v[2:3]
	v_mov_b32_e32 v2, s9
	v_add_co_u32_e64 v10, s[0:1], s8, v10
	v_addc_co_u32_e64 v11, s[0:1], v2, v11, s[0:1]
	s_waitcnt lgkmcnt(0)
	s_barrier
	global_load_dwordx4 v[10:13], v[10:11], off offset:160
	v_add_co_u32_e64 v14, s[0:1], s8, v14
	v_addc_co_u32_e64 v15, s[0:1], v2, v15, s[0:1]
	global_load_dwordx4 v[14:17], v[14:15], off offset:160
	ds_read2_b32 v[18:19], v1 offset0:125 offset1:150
	ds_read2_b32 v[20:21], v1 offset0:175 offset1:200
	ds_read_b32 v2, v1 offset:900
	ds_read2_b32 v[22:23], v1 offset0:75 offset1:100
	ds_read_b32 v25, v9
	s_waitcnt lgkmcnt(4)
	v_lshrrev_b32_e32 v7, 16, v18
	s_waitcnt lgkmcnt(3)
	v_lshrrev_b32_e32 v24, 16, v20
	;; [unrolled: 2-line block ×4, first 2 shown]
	s_movk_i32 s0, 0xffdc
	v_mad_i32_i24 v6, v0, s0, v6
	s_waitcnt vmcnt(1)
	v_mul_f16_sdwa v27, v10, v26 dst_sel:DWORD dst_unused:UNUSED_PAD src0_sel:WORD_1 src1_sel:DWORD
	v_fma_f16 v27, v10, v22, -v27
	v_mul_f16_sdwa v22, v10, v22 dst_sel:DWORD dst_unused:UNUSED_PAD src0_sel:WORD_1 src1_sel:DWORD
	v_fma_f16 v22, v10, v26, v22
	v_mul_f16_sdwa v10, v7, v11 dst_sel:DWORD dst_unused:UNUSED_PAD src0_sel:DWORD src1_sel:WORD_1
	v_fma_f16 v26, v18, v11, -v10
	v_mul_f16_sdwa v10, v18, v11 dst_sel:DWORD dst_unused:UNUSED_PAD src0_sel:DWORD src1_sel:WORD_1
	v_fma_f16 v7, v7, v11, v10
	v_mul_f16_sdwa v10, v9, v13 dst_sel:DWORD dst_unused:UNUSED_PAD src0_sel:DWORD src1_sel:WORD_1
	v_fma_f16 v11, v2, v13, -v10
	v_mul_f16_sdwa v2, v2, v13 dst_sel:DWORD dst_unused:UNUSED_PAD src0_sel:DWORD src1_sel:WORD_1
	v_fma_f16 v2, v9, v13, v2
	v_mul_f16_sdwa v9, v20, v12 dst_sel:DWORD dst_unused:UNUSED_PAD src0_sel:DWORD src1_sel:WORD_1
	v_fma_f16 v13, v24, v12, v9
	v_mul_f16_sdwa v9, v24, v12 dst_sel:DWORD dst_unused:UNUSED_PAD src0_sel:DWORD src1_sel:WORD_1
	v_fma_f16 v12, v20, v12, -v9
	v_lshrrev_b32_e32 v9, 16, v23
	s_waitcnt vmcnt(0)
	v_mul_f16_sdwa v10, v15, v9 dst_sel:DWORD dst_unused:UNUSED_PAD src0_sel:WORD_1 src1_sel:DWORD
	v_fma_f16 v18, v15, v23, -v10
	v_mul_f16_sdwa v10, v15, v23 dst_sel:DWORD dst_unused:UNUSED_PAD src0_sel:WORD_1 src1_sel:DWORD
	v_fma_f16 v15, v15, v9, v10
	v_lshrrev_b32_e32 v9, 16, v19
	v_mul_f16_sdwa v10, v16, v9 dst_sel:DWORD dst_unused:UNUSED_PAD src0_sel:WORD_1 src1_sel:DWORD
	v_fma_f16 v20, v16, v19, -v10
	v_mul_f16_sdwa v10, v16, v19 dst_sel:DWORD dst_unused:UNUSED_PAD src0_sel:WORD_1 src1_sel:DWORD
	v_fma_f16 v16, v16, v9, v10
	ds_read2_b32 v[9:10], v1 offset0:25 offset1:50
	v_lshrrev_b32_e32 v19, 16, v21
	v_mul_f16_sdwa v23, v17, v19 dst_sel:DWORD dst_unused:UNUSED_PAD src0_sel:WORD_1 src1_sel:DWORD
	v_fma_f16 v23, v17, v21, -v23
	v_mul_f16_sdwa v21, v17, v21 dst_sel:DWORD dst_unused:UNUSED_PAD src0_sel:WORD_1 src1_sel:DWORD
	v_fma_f16 v17, v17, v19, v21
	s_waitcnt lgkmcnt(0)
	v_lshrrev_b32_e32 v19, 16, v10
	v_mul_f16_sdwa v21, v14, v10 dst_sel:DWORD dst_unused:UNUSED_PAD src0_sel:WORD_1 src1_sel:DWORD
	v_fma_f16 v21, v14, v19, v21
	v_mul_f16_sdwa v19, v14, v19 dst_sel:DWORD dst_unused:UNUSED_PAD src0_sel:WORD_1 src1_sel:DWORD
	v_fma_f16 v10, v14, v10, -v19
	v_add_f16_e32 v14, v18, v20
	v_sub_f16_e32 v19, v10, v18
	v_sub_f16_e32 v24, v23, v20
	v_fma_f16 v14, v14, -0.5, v25
	v_add_f16_e32 v19, v19, v24
	v_sub_f16_e32 v24, v21, v17
	v_fma_f16 v28, v24, s4, v14
	v_sub_f16_e32 v29, v15, v16
	v_fma_f16 v14, v24, s7, v14
	v_fma_f16 v28, v29, s5, v28
	;; [unrolled: 1-line block ×5, first 2 shown]
	v_sub_f16_e32 v19, v18, v10
	v_sub_f16_e32 v30, v20, v23
	v_add_f16_e32 v19, v19, v30
	v_add_f16_e32 v30, v10, v23
	v_fma_f16 v30, v30, -0.5, v25
	v_fma_f16 v31, v29, s7, v30
	v_fma_f16 v29, v29, s4, v30
	;; [unrolled: 1-line block ×6, first 2 shown]
	v_add_f16_e32 v24, v25, v10
	v_add_f16_e32 v24, v24, v18
	;; [unrolled: 1-line block ×4, first 2 shown]
	v_sub_f16_e32 v10, v10, v23
	v_sub_f16_e32 v18, v18, v20
	;; [unrolled: 1-line block ×4, first 2 shown]
	v_add_f16_e32 v20, v20, v23
	v_lshrrev_b32_e32 v23, 16, v25
	v_add_f16_e32 v25, v15, v16
	v_fma_f16 v25, v25, -0.5, v23
	v_fma_f16 v30, v10, s7, v25
	v_fma_f16 v25, v10, s4, v25
	;; [unrolled: 1-line block ×6, first 2 shown]
	v_add_f16_e32 v25, v21, v17
	v_fma_f16 v25, v25, -0.5, v23
	v_add_f16_e32 v23, v23, v21
	v_add_f16_e32 v23, v23, v15
	v_sub_f16_e32 v15, v15, v21
	v_add_f16_e32 v21, v23, v16
	v_sub_f16_e32 v16, v16, v17
	v_add_f16_e32 v21, v21, v17
	v_add_f16_e32 v15, v15, v16
	v_fma_f16 v16, v18, s4, v25
	v_fma_f16 v17, v18, s7, v25
	v_fma_f16 v16, v10, s10, v16
	v_fma_f16 v10, v10, s5, v17
	v_fma_f16 v16, v15, s6, v16
	v_fma_f16 v10, v15, s6, v10
	v_add_f16_e32 v15, v26, v12
	v_sub_f16_e32 v23, v27, v26
	v_sub_f16_e32 v25, v11, v12
	v_fma_f16 v15, v15, -0.5, v9
	v_add_f16_e32 v23, v23, v25
	v_sub_f16_e32 v25, v22, v2
	v_fma_f16 v31, v25, s4, v15
	v_sub_f16_e32 v32, v7, v13
	v_fma_f16 v15, v25, s7, v15
	v_add_f16_e32 v17, v27, v11
	v_fma_f16 v31, v32, s5, v31
	v_fma_f16 v15, v32, s10, v15
	v_fma_f16 v17, v17, -0.5, v9
	v_fma_f16 v31, v23, s6, v31
	v_fma_f16 v15, v23, s6, v15
	v_sub_f16_e32 v23, v26, v27
	v_sub_f16_e32 v33, v12, v11
	v_lshrrev_b32_e32 v18, 16, v9
	v_add_f16_e32 v9, v9, v27
	v_add_f16_e32 v23, v23, v33
	v_fma_f16 v33, v32, s7, v17
	v_fma_f16 v17, v32, s4, v17
	;; [unrolled: 1-line block ×4, first 2 shown]
	v_add_f16_e32 v9, v9, v26
	v_fma_f16 v25, v23, s6, v32
	v_fma_f16 v17, v23, s6, v17
	v_add_f16_e32 v9, v9, v12
	v_sub_f16_e32 v12, v26, v12
	v_sub_f16_e32 v23, v22, v7
	;; [unrolled: 1-line block ×3, first 2 shown]
	v_add_f16_e32 v23, v23, v26
	v_add_f16_e32 v26, v7, v13
	;; [unrolled: 1-line block ×3, first 2 shown]
	v_sub_f16_e32 v11, v27, v11
	v_fma_f16 v26, v26, -0.5, v18
	v_fma_f16 v27, v11, s7, v26
	v_fma_f16 v26, v11, s4, v26
	;; [unrolled: 1-line block ×6, first 2 shown]
	v_add_f16_e32 v26, v22, v2
	v_fma_f16 v26, v26, -0.5, v18
	v_add_f16_e32 v18, v18, v22
	v_add_f16_e32 v18, v18, v7
	v_add_f16_e32 v18, v18, v13
	v_sub_f16_e32 v7, v7, v22
	v_add_f16_e32 v18, v18, v2
	v_sub_f16_e32 v2, v13, v2
	v_add_f16_e32 v2, v7, v2
	v_fma_f16 v7, v12, s4, v26
	v_fma_f16 v12, v12, s7, v26
	;; [unrolled: 1-line block ×4, first 2 shown]
	v_pack_b32_f16 v12, v28, v30
	v_pack_b32_f16 v13, v29, v16
	v_fma_f16 v7, v2, s6, v7
	v_fma_f16 v2, v2, s6, v11
	s_barrier
	v_pack_b32_f16 v11, v24, v21
	ds_write2_b32 v1, v12, v13 offset0:50 offset1:100
	v_pack_b32_f16 v10, v19, v10
	v_pack_b32_f16 v12, v14, v20
	;; [unrolled: 1-line block ×3, first 2 shown]
	ds_write2_b32 v1, v10, v12 offset0:150 offset1:200
	ds_write2_b32 v1, v11, v9 offset1:25
	ds_write_b16 v6, v31 offset:300
	ds_write_b16 v6, v27 offset:302
	;; [unrolled: 1-line block ×8, first 2 shown]
	s_waitcnt lgkmcnt(0)
	s_barrier
	s_and_saveexec_b64 s[0:1], vcc
	s_cbranch_execz .LBB0_18
; %bb.17:
	v_lshl_add_u32 v8, v0, 2, v8
	v_mov_b32_e32 v1, v3
	ds_read2_b32 v[6:7], v8 offset1:25
	v_mov_b32_e32 v2, s3
	v_add_co_u32_e32 v9, vcc, s2, v4
	v_addc_co_u32_e32 v10, vcc, v2, v5, vcc
	v_lshlrev_b64 v[1:2], 2, v[0:1]
	ds_read2_b32 v[4:5], v8 offset0:50 offset1:75
	v_add_co_u32_e32 v1, vcc, v9, v1
	v_addc_co_u32_e32 v2, vcc, v10, v2, vcc
	s_waitcnt lgkmcnt(1)
	global_store_dword v[1:2], v6, off
	v_add_u32_e32 v2, 25, v0
	v_lshlrev_b64 v[1:2], 2, v[2:3]
	v_add_co_u32_e32 v1, vcc, v9, v1
	v_addc_co_u32_e32 v2, vcc, v10, v2, vcc
	global_store_dword v[1:2], v7, off
	v_add_u32_e32 v2, 50, v0
	v_lshlrev_b64 v[1:2], 2, v[2:3]
	v_add_co_u32_e32 v1, vcc, v9, v1
	v_addc_co_u32_e32 v2, vcc, v10, v2, vcc
	s_waitcnt lgkmcnt(0)
	global_store_dword v[1:2], v4, off
	v_add_u32_e32 v2, 0x4b, v0
	v_lshlrev_b64 v[1:2], 2, v[2:3]
	v_add_co_u32_e32 v1, vcc, v9, v1
	v_addc_co_u32_e32 v2, vcc, v10, v2, vcc
	global_store_dword v[1:2], v5, off
	v_add_u32_e32 v2, 0x64, v0
	ds_read2_b32 v[4:5], v8 offset0:100 offset1:125
	v_lshlrev_b64 v[1:2], 2, v[2:3]
	v_add_co_u32_e32 v1, vcc, v9, v1
	v_addc_co_u32_e32 v2, vcc, v10, v2, vcc
	s_waitcnt lgkmcnt(0)
	global_store_dword v[1:2], v4, off
	v_add_u32_e32 v2, 0x7d, v0
	v_lshlrev_b64 v[1:2], 2, v[2:3]
	v_add_co_u32_e32 v1, vcc, v9, v1
	v_addc_co_u32_e32 v2, vcc, v10, v2, vcc
	global_store_dword v[1:2], v5, off
	v_add_u32_e32 v2, 0x96, v0
	ds_read2_b32 v[4:5], v8 offset0:150 offset1:175
	;; [unrolled: 12-line block ×3, first 2 shown]
	v_lshlrev_b64 v[1:2], 2, v[2:3]
	v_add_co_u32_e32 v1, vcc, v9, v1
	v_addc_co_u32_e32 v2, vcc, v10, v2, vcc
	s_waitcnt lgkmcnt(0)
	global_store_dword v[1:2], v4, off
	v_add_u32_e32 v2, 0xe1, v0
	v_lshlrev_b64 v[0:1], 2, v[2:3]
	v_add_co_u32_e32 v0, vcc, v9, v0
	v_addc_co_u32_e32 v1, vcc, v10, v1, vcc
	global_store_dword v[0:1], v5, off
.LBB0_18:
	s_endpgm
	.section	.rodata,"a",@progbits
	.p2align	6, 0x0
	.amdhsa_kernel fft_rtc_fwd_len250_factors_10_5_5_wgs_125_tpt_25_halfLds_half_ip_CI_unitstride_sbrr_C2R_dirReg
		.amdhsa_group_segment_fixed_size 0
		.amdhsa_private_segment_fixed_size 0
		.amdhsa_kernarg_size 88
		.amdhsa_user_sgpr_count 6
		.amdhsa_user_sgpr_private_segment_buffer 1
		.amdhsa_user_sgpr_dispatch_ptr 0
		.amdhsa_user_sgpr_queue_ptr 0
		.amdhsa_user_sgpr_kernarg_segment_ptr 1
		.amdhsa_user_sgpr_dispatch_id 0
		.amdhsa_user_sgpr_flat_scratch_init 0
		.amdhsa_user_sgpr_private_segment_size 0
		.amdhsa_uses_dynamic_stack 0
		.amdhsa_system_sgpr_private_segment_wavefront_offset 0
		.amdhsa_system_sgpr_workgroup_id_x 1
		.amdhsa_system_sgpr_workgroup_id_y 0
		.amdhsa_system_sgpr_workgroup_id_z 0
		.amdhsa_system_sgpr_workgroup_info 0
		.amdhsa_system_vgpr_workitem_id 0
		.amdhsa_next_free_vgpr 44
		.amdhsa_next_free_sgpr 22
		.amdhsa_reserve_vcc 1
		.amdhsa_reserve_flat_scratch 0
		.amdhsa_float_round_mode_32 0
		.amdhsa_float_round_mode_16_64 0
		.amdhsa_float_denorm_mode_32 3
		.amdhsa_float_denorm_mode_16_64 3
		.amdhsa_dx10_clamp 1
		.amdhsa_ieee_mode 1
		.amdhsa_fp16_overflow 0
		.amdhsa_exception_fp_ieee_invalid_op 0
		.amdhsa_exception_fp_denorm_src 0
		.amdhsa_exception_fp_ieee_div_zero 0
		.amdhsa_exception_fp_ieee_overflow 0
		.amdhsa_exception_fp_ieee_underflow 0
		.amdhsa_exception_fp_ieee_inexact 0
		.amdhsa_exception_int_div_zero 0
	.end_amdhsa_kernel
	.text
.Lfunc_end0:
	.size	fft_rtc_fwd_len250_factors_10_5_5_wgs_125_tpt_25_halfLds_half_ip_CI_unitstride_sbrr_C2R_dirReg, .Lfunc_end0-fft_rtc_fwd_len250_factors_10_5_5_wgs_125_tpt_25_halfLds_half_ip_CI_unitstride_sbrr_C2R_dirReg
                                        ; -- End function
	.section	.AMDGPU.csdata,"",@progbits
; Kernel info:
; codeLenInByte = 6604
; NumSgprs: 26
; NumVgprs: 44
; ScratchSize: 0
; MemoryBound: 0
; FloatMode: 240
; IeeeMode: 1
; LDSByteSize: 0 bytes/workgroup (compile time only)
; SGPRBlocks: 3
; VGPRBlocks: 10
; NumSGPRsForWavesPerEU: 26
; NumVGPRsForWavesPerEU: 44
; Occupancy: 5
; WaveLimiterHint : 1
; COMPUTE_PGM_RSRC2:SCRATCH_EN: 0
; COMPUTE_PGM_RSRC2:USER_SGPR: 6
; COMPUTE_PGM_RSRC2:TRAP_HANDLER: 0
; COMPUTE_PGM_RSRC2:TGID_X_EN: 1
; COMPUTE_PGM_RSRC2:TGID_Y_EN: 0
; COMPUTE_PGM_RSRC2:TGID_Z_EN: 0
; COMPUTE_PGM_RSRC2:TIDIG_COMP_CNT: 0
	.type	__hip_cuid_c870743b211f735,@object ; @__hip_cuid_c870743b211f735
	.section	.bss,"aw",@nobits
	.globl	__hip_cuid_c870743b211f735
__hip_cuid_c870743b211f735:
	.byte	0                               ; 0x0
	.size	__hip_cuid_c870743b211f735, 1

	.ident	"AMD clang version 19.0.0git (https://github.com/RadeonOpenCompute/llvm-project roc-6.4.0 25133 c7fe45cf4b819c5991fe208aaa96edf142730f1d)"
	.section	".note.GNU-stack","",@progbits
	.addrsig
	.addrsig_sym __hip_cuid_c870743b211f735
	.amdgpu_metadata
---
amdhsa.kernels:
  - .args:
      - .actual_access:  read_only
        .address_space:  global
        .offset:         0
        .size:           8
        .value_kind:     global_buffer
      - .offset:         8
        .size:           8
        .value_kind:     by_value
      - .actual_access:  read_only
        .address_space:  global
        .offset:         16
        .size:           8
        .value_kind:     global_buffer
      - .actual_access:  read_only
        .address_space:  global
        .offset:         24
        .size:           8
        .value_kind:     global_buffer
      - .offset:         32
        .size:           8
        .value_kind:     by_value
      - .actual_access:  read_only
        .address_space:  global
        .offset:         40
        .size:           8
        .value_kind:     global_buffer
      - .actual_access:  read_only
        .address_space:  global
        .offset:         48
        .size:           8
        .value_kind:     global_buffer
      - .offset:         56
        .size:           4
        .value_kind:     by_value
      - .actual_access:  read_only
        .address_space:  global
        .offset:         64
        .size:           8
        .value_kind:     global_buffer
      - .actual_access:  read_only
        .address_space:  global
        .offset:         72
        .size:           8
        .value_kind:     global_buffer
      - .address_space:  global
        .offset:         80
        .size:           8
        .value_kind:     global_buffer
    .group_segment_fixed_size: 0
    .kernarg_segment_align: 8
    .kernarg_segment_size: 88
    .language:       OpenCL C
    .language_version:
      - 2
      - 0
    .max_flat_workgroup_size: 125
    .name:           fft_rtc_fwd_len250_factors_10_5_5_wgs_125_tpt_25_halfLds_half_ip_CI_unitstride_sbrr_C2R_dirReg
    .private_segment_fixed_size: 0
    .sgpr_count:     26
    .sgpr_spill_count: 0
    .symbol:         fft_rtc_fwd_len250_factors_10_5_5_wgs_125_tpt_25_halfLds_half_ip_CI_unitstride_sbrr_C2R_dirReg.kd
    .uniform_work_group_size: 1
    .uses_dynamic_stack: false
    .vgpr_count:     44
    .vgpr_spill_count: 0
    .wavefront_size: 64
amdhsa.target:   amdgcn-amd-amdhsa--gfx906
amdhsa.version:
  - 1
  - 2
...

	.end_amdgpu_metadata
